;; amdgpu-corpus repo=ROCm/rocFFT kind=compiled arch=gfx906 opt=O3
	.text
	.amdgcn_target "amdgcn-amd-amdhsa--gfx906"
	.amdhsa_code_object_version 6
	.protected	bluestein_single_back_len100_dim1_dp_op_CI_CI ; -- Begin function bluestein_single_back_len100_dim1_dp_op_CI_CI
	.globl	bluestein_single_back_len100_dim1_dp_op_CI_CI
	.p2align	8
	.type	bluestein_single_back_len100_dim1_dp_op_CI_CI,@function
bluestein_single_back_len100_dim1_dp_op_CI_CI: ; @bluestein_single_back_len100_dim1_dp_op_CI_CI
; %bb.0:
	v_mul_u32_u24_e32 v1, 0x199a, v0
	s_load_dwordx4 s[16:19], s[4:5], 0x28
	v_lshrrev_b32_e32 v1, 16, v1
	v_mad_u64_u32 v[76:77], s[0:1], s6, 6, v[1:2]
	v_mov_b32_e32 v77, 0
	s_waitcnt lgkmcnt(0)
	v_cmp_gt_u64_e32 vcc, s[16:17], v[76:77]
	s_and_saveexec_b64 s[0:1], vcc
	s_cbranch_execz .LBB0_2
; %bb.1:
	s_load_dwordx4 s[0:3], s[4:5], 0x18
	s_load_dwordx4 s[8:11], s[4:5], 0x0
	v_mul_lo_u16_e32 v1, 10, v1
	v_sub_u16_e32 v78, v0, v1
	v_mov_b32_e32 v7, s19
	s_waitcnt lgkmcnt(0)
	s_load_dwordx4 s[12:15], s[0:1], 0x0
	s_add_u32 s26, s8, 0x640
	s_addc_u32 s27, s9, 0
	v_lshlrev_b32_e32 v81, 4, v78
	v_or_b32_e32 v77, 0x50, v78
	s_waitcnt lgkmcnt(0)
	v_mad_u64_u32 v[0:1], s[0:1], s14, v76, 0
	v_mad_u64_u32 v[2:3], s[0:1], s12, v78, 0
	v_mov_b32_e32 v79, 0x140
	s_mov_b32 s19, 0xbfee6f0e
	v_mad_u64_u32 v[4:5], s[0:1], s15, v76, v[1:2]
	s_mov_b32 s17, 0xbfe2cf23
	s_mov_b32 s14, 0x372fe950
	v_mad_u64_u32 v[5:6], s[0:1], s13, v78, v[3:4]
	v_mov_b32_e32 v1, v4
	v_lshlrev_b64 v[0:1], 4, v[0:1]
	v_mov_b32_e32 v3, v5
	v_add_co_u32_e32 v13, vcc, s18, v0
	v_addc_co_u32_e32 v14, vcc, v7, v1, vcc
	v_lshlrev_b64 v[0:1], 4, v[2:3]
	s_mul_i32 s0, s13, 0xa0
	v_add_co_u32_e32 v0, vcc, v13, v0
	s_mul_hi_u32 s1, s12, 0xa0
	v_addc_co_u32_e32 v1, vcc, v14, v1, vcc
	s_add_i32 s1, s1, s0
	s_mul_i32 s0, s12, 0xa0
	global_load_dwordx4 v[40:43], v[0:1], off
	v_mov_b32_e32 v2, s1
	v_add_co_u32_e32 v0, vcc, s0, v0
	v_addc_co_u32_e32 v1, vcc, v1, v2, vcc
	global_load_dwordx4 v[32:35], v81, s[8:9]
	global_load_dwordx4 v[16:19], v81, s[8:9] offset:160
	v_mov_b32_e32 v3, s1
	v_add_co_u32_e32 v2, vcc, s0, v0
	v_addc_co_u32_e32 v3, vcc, v1, v3, vcc
	global_load_dwordx4 v[44:47], v[0:1], off
	global_load_dwordx4 v[48:51], v[2:3], off
	v_mov_b32_e32 v1, s1
	v_add_co_u32_e32 v0, vcc, s0, v2
	v_addc_co_u32_e32 v1, vcc, v3, v1, vcc
	v_mov_b32_e32 v3, s1
	v_add_co_u32_e32 v2, vcc, s0, v0
	v_addc_co_u32_e32 v3, vcc, v1, v3, vcc
	global_load_dwordx4 v[20:23], v81, s[8:9] offset:320
	global_load_dwordx4 v[4:7], v81, s[8:9] offset:480
	global_load_dwordx4 v[52:55], v[0:1], off
	global_load_dwordx4 v[56:59], v[2:3], off
	v_mov_b32_e32 v0, s1
	v_add_co_u32_e32 v8, vcc, s0, v2
	v_addc_co_u32_e32 v9, vcc, v3, v0, vcc
	global_load_dwordx4 v[60:63], v[8:9], off
	global_load_dwordx4 v[24:27], v81, s[8:9] offset:640
	global_load_dwordx4 v[0:3], v81, s[8:9] offset:800
	v_mov_b32_e32 v10, s1
	v_add_co_u32_e32 v8, vcc, s0, v8
	v_addc_co_u32_e32 v9, vcc, v9, v10, vcc
	v_mad_u64_u32 v[10:11], s[6:7], s12, v77, 0
	global_load_dwordx4 v[64:67], v[8:9], off
	v_mov_b32_e32 v12, s1
	v_add_co_u32_e32 v8, vcc, s0, v8
	v_addc_co_u32_e32 v9, vcc, v9, v12, vcc
	v_mad_u64_u32 v[11:12], s[0:1], s13, v77, v[11:12]
	v_mad_u64_u32 v[86:87], s[0:1], s12, v79, v[8:9]
	v_lshlrev_b64 v[10:11], 4, v[10:11]
	global_load_dwordx4 v[68:71], v[8:9], off
	global_load_dwordx4 v[36:39], v81, s[8:9] offset:960
	global_load_dwordx4 v[28:31], v81, s[8:9] offset:1120
	v_add_co_u32_e32 v8, vcc, v13, v10
	v_addc_co_u32_e32 v9, vcc, v14, v11, vcc
	global_load_dwordx4 v[72:75], v[8:9], off
	s_mul_i32 s0, s13, 0x140
	v_add_u32_e32 v87, s0, v87
	global_load_dwordx4 v[8:11], v81, s[8:9] offset:1280
	global_load_dwordx4 v[82:85], v[86:87], off
	global_load_dwordx4 v[12:15], v81, s[8:9] offset:1440
	s_mov_b32 s0, 0xaaaaaaab
	v_mul_hi_u32 v80, v76, s0
	s_load_dwordx4 s[0:3], s[2:3], 0x0
	s_mov_b32 s6, 0x134454ff
	s_mov_b32 s7, 0x3fee6f0e
	v_lshrrev_b32_e32 v80, 2, v80
	v_mul_lo_u32 v80, v80, 6
	s_mov_b32 s18, s6
	s_mov_b32 s12, 0x4755a5e
	;; [unrolled: 1-line block ×11, first 2 shown]
	s_movk_i32 s28, 0x90
	s_load_dwordx2 s[4:5], s[4:5], 0x38
	s_waitcnt vmcnt(18)
	v_mul_f64 v[86:87], v[42:43], v[34:35]
	v_mul_f64 v[88:89], v[40:41], v[34:35]
	s_waitcnt vmcnt(16)
	v_mul_f64 v[90:91], v[46:47], v[18:19]
	v_mul_f64 v[92:93], v[44:45], v[18:19]
	v_fma_f64 v[86:87], v[40:41], v[32:33], v[86:87]
	v_fma_f64 v[88:89], v[42:43], v[32:33], -v[88:89]
	v_sub_u32_e32 v40, v76, v80
	v_mul_u32_u24_e32 v40, 0x64, v40
	v_lshlrev_b32_e32 v40, 4, v40
	v_add_u32_e32 v80, v81, v40
	v_fma_f64 v[41:42], v[44:45], v[16:17], v[90:91]
	v_fma_f64 v[43:44], v[46:47], v[16:17], -v[92:93]
	ds_write_b128 v80, v[86:89]
	ds_write_b128 v80, v[41:44] offset:160
	s_waitcnt vmcnt(14)
	v_mul_f64 v[41:42], v[50:51], v[22:23]
	v_mul_f64 v[43:44], v[48:49], v[22:23]
	s_waitcnt vmcnt(12)
	v_mul_f64 v[45:46], v[54:55], v[6:7]
	v_mul_f64 v[86:87], v[52:53], v[6:7]
	;; [unrolled: 3-line block ×4, first 2 shown]
	v_fma_f64 v[41:42], v[48:49], v[20:21], v[41:42]
	v_fma_f64 v[43:44], v[50:51], v[20:21], -v[43:44]
	v_fma_f64 v[45:46], v[52:53], v[4:5], v[45:46]
	v_fma_f64 v[47:48], v[54:55], v[4:5], -v[86:87]
	v_fma_f64 v[49:50], v[56:57], v[24:25], v[88:89]
	v_fma_f64 v[51:52], v[58:59], v[24:25], -v[90:91]
	v_fma_f64 v[53:54], v[60:61], v[0:1], v[92:93]
	v_fma_f64 v[55:56], v[62:63], v[0:1], -v[94:95]
	s_waitcnt vmcnt(5)
	v_mul_f64 v[57:58], v[66:67], v[38:39]
	v_mul_f64 v[59:60], v[64:65], v[38:39]
	s_waitcnt vmcnt(4)
	v_mul_f64 v[61:62], v[70:71], v[30:31]
	v_mul_f64 v[86:87], v[68:69], v[30:31]
	;; [unrolled: 3-line block ×4, first 2 shown]
	v_fma_f64 v[57:58], v[64:65], v[36:37], v[57:58]
	v_fma_f64 v[59:60], v[66:67], v[36:37], -v[59:60]
	v_fma_f64 v[61:62], v[68:69], v[28:29], v[61:62]
	v_fma_f64 v[63:64], v[70:71], v[28:29], -v[86:87]
	;; [unrolled: 2-line block ×4, first 2 shown]
	ds_write_b128 v80, v[41:44] offset:320
	ds_write_b128 v80, v[45:48] offset:480
	ds_write_b128 v80, v[49:52] offset:640
	ds_write_b128 v80, v[53:56] offset:800
	ds_write_b128 v80, v[57:60] offset:960
	ds_write_b128 v80, v[61:64] offset:1120
	ds_write_b128 v80, v[65:68] offset:1280
	ds_write_b128 v80, v[69:72] offset:1440
	s_waitcnt lgkmcnt(0)
	; wave barrier
	s_waitcnt lgkmcnt(0)
	ds_read_b128 v[41:44], v80 offset:960
	ds_read_b128 v[45:48], v80 offset:640
	;; [unrolled: 1-line block ×5, first 2 shown]
	ds_read_b128 v[61:64], v80
	ds_read_b128 v[65:68], v80 offset:1280
	ds_read_b128 v[69:72], v80 offset:160
	;; [unrolled: 1-line block ×4, first 2 shown]
	s_waitcnt lgkmcnt(8)
	v_add_f64 v[73:74], v[45:46], v[41:42]
	s_waitcnt lgkmcnt(3)
	v_add_f64 v[92:93], v[59:60], -v[67:68]
	v_add_f64 v[98:99], v[57:58], -v[45:46]
	;; [unrolled: 1-line block ×3, first 2 shown]
	v_add_f64 v[102:103], v[57:58], v[65:66]
	v_add_f64 v[90:91], v[61:62], v[57:58]
	v_add_f64 v[96:97], v[47:48], -v[43:44]
	v_add_f64 v[106:107], v[45:46], -v[57:58]
	v_fma_f64 v[73:74], v[73:74], -0.5, v[61:62]
	v_add_f64 v[108:109], v[41:42], -v[65:66]
	v_add_f64 v[57:58], v[57:58], -v[65:66]
	v_add_f64 v[98:99], v[98:99], v[100:101]
	v_fma_f64 v[61:62], v[102:103], -0.5, v[61:62]
	v_add_f64 v[100:101], v[63:64], v[59:60]
	v_add_f64 v[102:103], v[47:48], v[43:44]
	;; [unrolled: 1-line block ×3, first 2 shown]
	v_fma_f64 v[94:95], v[92:93], s[6:7], v[73:74]
	v_fma_f64 v[73:74], v[92:93], s[18:19], v[73:74]
	s_waitcnt lgkmcnt(0)
	v_add_f64 v[110:111], v[86:87], -v[53:54]
	v_fma_f64 v[104:105], v[96:97], s[18:19], v[61:62]
	v_fma_f64 v[61:62], v[96:97], s[6:7], v[61:62]
	; wave barrier
	v_add_f64 v[90:91], v[90:91], v[41:42]
	v_fma_f64 v[94:95], v[96:97], s[12:13], v[94:95]
	v_fma_f64 v[73:74], v[96:97], s[16:17], v[73:74]
	v_add_f64 v[96:97], v[100:101], v[47:48]
	v_fma_f64 v[100:101], v[102:103], -0.5, v[63:64]
	v_fma_f64 v[102:103], v[92:93], s[12:13], v[104:105]
	v_add_f64 v[104:105], v[106:107], v[108:109]
	v_fma_f64 v[61:62], v[92:93], s[16:17], v[61:62]
	v_add_f64 v[41:42], v[45:46], -v[41:42]
	v_fma_f64 v[94:95], v[98:99], s[14:15], v[94:95]
	v_fma_f64 v[73:74], v[98:99], s[14:15], v[73:74]
	v_add_f64 v[92:93], v[96:97], v[43:44]
	v_add_f64 v[96:97], v[59:60], v[67:68]
	v_fma_f64 v[98:99], v[57:58], s[18:19], v[100:101]
	v_fma_f64 v[102:103], v[104:105], s[14:15], v[102:103]
	v_add_f64 v[45:46], v[49:50], v[53:54]
	v_add_f64 v[106:107], v[59:60], -v[47:48]
	v_fma_f64 v[104:105], v[104:105], s[14:15], v[61:62]
	v_add_f64 v[61:62], v[67:68], -v[43:44]
	v_add_f64 v[65:66], v[90:91], v[65:66]
	v_fma_f64 v[63:64], v[96:97], -0.5, v[63:64]
	v_add_f64 v[96:97], v[69:70], v[82:83]
	v_add_f64 v[90:91], v[92:93], v[67:68]
	v_fma_f64 v[92:93], v[41:42], s[16:17], v[98:99]
	v_fma_f64 v[45:46], v[45:46], -0.5, v[69:70]
	v_add_f64 v[98:99], v[84:85], -v[88:89]
	v_add_f64 v[61:62], v[106:107], v[61:62]
	v_fma_f64 v[100:101], v[57:58], s[6:7], v[100:101]
	v_fma_f64 v[106:107], v[41:42], s[6:7], v[63:64]
	v_add_f64 v[47:48], v[47:48], -v[59:60]
	v_add_f64 v[43:44], v[43:44], -v[67:68]
	v_fma_f64 v[59:60], v[41:42], s[18:19], v[63:64]
	v_add_f64 v[63:64], v[96:97], v[49:50]
	v_fma_f64 v[67:68], v[98:99], s[6:7], v[45:46]
	v_add_f64 v[96:97], v[51:52], -v[55:56]
	v_add_f64 v[108:109], v[82:83], -v[49:50]
	v_fma_f64 v[41:42], v[41:42], s[12:13], v[100:101]
	v_fma_f64 v[100:101], v[57:58], s[16:17], v[106:107]
	v_add_f64 v[106:107], v[82:83], v[86:87]
	v_add_f64 v[43:44], v[47:48], v[43:44]
	v_fma_f64 v[47:48], v[57:58], s[12:13], v[59:60]
	v_add_f64 v[57:58], v[63:64], v[53:54]
	v_fma_f64 v[59:60], v[96:97], s[12:13], v[67:68]
	;; [unrolled: 2-line block ×3, first 2 shown]
	v_fma_f64 v[92:93], v[61:62], s[14:15], v[41:42]
	v_fma_f64 v[41:42], v[106:107], -0.5, v[69:70]
	v_fma_f64 v[100:101], v[43:44], s[14:15], v[100:101]
	v_fma_f64 v[106:107], v[43:44], s[14:15], v[47:48]
	v_add_f64 v[61:62], v[57:58], v[86:87]
	v_add_f64 v[43:44], v[51:52], v[55:56]
	;; [unrolled: 1-line block ×3, first 2 shown]
	v_fma_f64 v[47:48], v[63:64], s[14:15], v[59:60]
	v_fma_f64 v[45:46], v[98:99], s[18:19], v[45:46]
	;; [unrolled: 1-line block ×3, first 2 shown]
	v_add_f64 v[69:70], v[49:50], -v[82:83]
	v_add_f64 v[108:109], v[53:54], -v[86:87]
	v_add_f64 v[110:111], v[71:72], v[84:85]
	v_fma_f64 v[43:44], v[43:44], -0.5, v[71:72]
	v_add_f64 v[82:83], v[82:83], -v[86:87]
	v_fma_f64 v[57:58], v[57:58], -0.5, v[71:72]
	v_add_f64 v[49:50], v[49:50], -v[53:54]
	v_fma_f64 v[45:46], v[96:97], s[16:17], v[45:46]
	v_fma_f64 v[53:54], v[98:99], s[12:13], v[59:60]
	v_add_f64 v[59:60], v[69:70], v[108:109]
	v_fma_f64 v[41:42], v[96:97], s[6:7], v[41:42]
	v_add_f64 v[69:70], v[110:111], v[51:52]
	v_fma_f64 v[71:72], v[82:83], s[18:19], v[43:44]
	v_add_f64 v[86:87], v[84:85], -v[51:52]
	v_fma_f64 v[96:97], v[49:50], s[6:7], v[57:58]
	v_add_f64 v[51:52], v[51:52], -v[84:85]
	v_add_f64 v[84:85], v[55:56], -v[88:89]
	;; [unrolled: 1-line block ×3, first 2 shown]
	v_fma_f64 v[43:44], v[82:83], s[6:7], v[43:44]
	v_fma_f64 v[57:58], v[49:50], s[18:19], v[57:58]
	;; [unrolled: 1-line block ×3, first 2 shown]
	v_add_f64 v[55:56], v[69:70], v[55:56]
	v_fma_f64 v[69:70], v[49:50], s[16:17], v[71:72]
	v_fma_f64 v[71:72], v[82:83], s[16:17], v[96:97]
	v_add_f64 v[51:52], v[51:52], v[84:85]
	v_add_f64 v[84:85], v[86:87], v[108:109]
	v_fma_f64 v[43:44], v[49:50], s[12:13], v[43:44]
	v_fma_f64 v[49:50], v[82:83], s[12:13], v[57:58]
	;; [unrolled: 1-line block ×5, first 2 shown]
	v_add_f64 v[63:64], v[55:56], v[88:89]
	v_fma_f64 v[55:56], v[51:52], s[14:15], v[71:72]
	v_fma_f64 v[59:60], v[84:85], s[14:15], v[69:70]
	;; [unrolled: 1-line block ×4, first 2 shown]
	v_mul_f64 v[51:52], v[47:48], s[20:21]
	v_mul_f64 v[47:48], v[47:48], s[16:17]
	;; [unrolled: 1-line block ×5, first 2 shown]
	v_add_f64 v[41:42], v[65:66], v[61:62]
	v_mul_f64 v[88:89], v[43:44], s[24:25]
	v_mul_f64 v[86:87], v[49:50], s[22:23]
	v_fma_f64 v[84:85], v[59:60], s[12:13], v[51:52]
	v_mul_f64 v[51:52], v[45:46], s[18:19]
	v_fma_f64 v[98:99], v[59:60], s[20:21], v[47:48]
	v_fma_f64 v[71:72], v[49:50], s[6:7], v[71:72]
	;; [unrolled: 1-line block ×6, first 2 shown]
	v_add_f64 v[43:44], v[90:91], v[63:64]
	v_fma_f64 v[108:109], v[55:56], s[14:15], v[51:52]
	v_add_f64 v[45:46], v[94:95], v[84:85]
	v_add_f64 v[47:48], v[67:68], v[98:99]
	;; [unrolled: 1-line block ×8, first 2 shown]
	v_add_f64 v[61:62], v[65:66], -v[61:62]
	v_add_f64 v[63:64], v[90:91], -v[63:64]
	;; [unrolled: 1-line block ×6, first 2 shown]
	v_mul_lo_u16_e32 v73, 10, v78
	v_add_f64 v[69:70], v[102:103], -v[69:70]
	v_add_f64 v[83:84], v[104:105], -v[71:72]
	;; [unrolled: 1-line block ×3, first 2 shown]
	v_lshl_add_u32 v82, v73, 4, v40
	v_add_f64 v[85:86], v[106:107], -v[110:111]
	ds_write_b128 v82, v[41:44]
	ds_write_b128 v82, v[45:48] offset:16
	ds_write_b128 v82, v[49:52] offset:32
	;; [unrolled: 1-line block ×8, first 2 shown]
	v_mov_b32_e32 v41, s11
	v_mov_b32_e32 v40, s10
	v_mad_u64_u32 v[83:84], s[10:11], v78, s28, v[40:41]
	ds_write_b128 v82, v[87:90] offset:144
	s_waitcnt lgkmcnt(0)
	; wave barrier
	s_waitcnt lgkmcnt(0)
	global_load_dwordx4 v[52:55], v[83:84], off
	global_load_dwordx4 v[48:51], v[83:84], off offset:16
	global_load_dwordx4 v[44:47], v[83:84], off offset:32
	global_load_dwordx4 v[40:43], v[83:84], off offset:48
	global_load_dwordx4 v[64:67], v[83:84], off offset:64
	global_load_dwordx4 v[60:63], v[83:84], off offset:80
	global_load_dwordx4 v[56:59], v[83:84], off offset:96
	global_load_dwordx4 v[68:71], v[83:84], off offset:112
	global_load_dwordx4 v[72:75], v[83:84], off offset:128
	ds_read_b128 v[83:86], v80 offset:160
	ds_read_b128 v[87:90], v80 offset:320
	;; [unrolled: 1-line block ×3, first 2 shown]
	ds_read_b128 v[95:98], v80
	ds_read_b128 v[99:102], v80 offset:640
	ds_read_b128 v[103:106], v80 offset:800
	s_waitcnt vmcnt(8) lgkmcnt(5)
	v_mul_f64 v[107:108], v[85:86], v[54:55]
	v_mul_f64 v[109:110], v[83:84], v[54:55]
	s_waitcnt vmcnt(7) lgkmcnt(4)
	v_mul_f64 v[111:112], v[89:90], v[50:51]
	v_mul_f64 v[113:114], v[87:88], v[50:51]
	;; [unrolled: 3-line block ×4, first 2 shown]
	v_fma_f64 v[107:108], v[83:84], v[52:53], -v[107:108]
	v_fma_f64 v[109:110], v[85:86], v[52:53], v[109:110]
	ds_read_b128 v[83:86], v80 offset:960
	v_fma_f64 v[111:112], v[87:88], v[48:49], -v[111:112]
	v_fma_f64 v[113:114], v[89:90], v[48:49], v[113:114]
	ds_read_b128 v[87:90], v80 offset:1120
	v_fma_f64 v[115:116], v[91:92], v[44:45], -v[115:116]
	s_waitcnt vmcnt(4) lgkmcnt(2)
	v_mul_f64 v[123:124], v[105:106], v[66:67]
	v_mul_f64 v[125:126], v[103:104], v[66:67]
	s_waitcnt vmcnt(3) lgkmcnt(1)
	v_mul_f64 v[127:128], v[85:86], v[62:63]
	v_mul_f64 v[129:130], v[83:84], v[62:63]
	v_fma_f64 v[117:118], v[93:94], v[44:45], v[117:118]
	ds_read_b128 v[91:94], v80 offset:1280
	v_fma_f64 v[119:120], v[99:100], v[40:41], -v[119:120]
	v_fma_f64 v[121:122], v[101:102], v[40:41], v[121:122]
	ds_read_b128 v[99:102], v80 offset:1440
	s_waitcnt vmcnt(2) lgkmcnt(2)
	v_mul_f64 v[131:132], v[89:90], v[58:59]
	v_mul_f64 v[133:134], v[87:88], v[58:59]
	s_waitcnt vmcnt(1) lgkmcnt(1)
	v_mul_f64 v[135:136], v[93:94], v[70:71]
	v_fma_f64 v[103:104], v[103:104], v[64:65], -v[123:124]
	v_fma_f64 v[105:106], v[105:106], v[64:65], v[125:126]
	v_fma_f64 v[125:126], v[83:84], v[60:61], -v[127:128]
	v_fma_f64 v[127:128], v[85:86], v[60:61], v[129:130]
	v_add_f64 v[85:86], v[107:108], v[115:116]
	v_mul_f64 v[123:124], v[91:92], v[70:71]
	v_fma_f64 v[129:130], v[87:88], v[56:57], -v[131:132]
	v_fma_f64 v[89:90], v[89:90], v[56:57], v[133:134]
	v_fma_f64 v[91:92], v[91:92], v[68:69], -v[135:136]
	v_add_f64 v[83:84], v[95:96], v[111:112]
	s_waitcnt vmcnt(0) lgkmcnt(0)
	v_mul_f64 v[87:88], v[101:102], v[74:75]
	v_add_f64 v[133:134], v[97:98], v[113:114]
	v_add_f64 v[85:86], v[85:86], v[103:104]
	v_fma_f64 v[93:94], v[93:94], v[68:69], v[123:124]
	v_mul_f64 v[123:124], v[99:100], v[74:75]
	v_add_f64 v[131:132], v[119:120], v[125:126]
	v_add_f64 v[137:138], v[111:112], v[91:92]
	;; [unrolled: 1-line block ×3, first 2 shown]
	v_fma_f64 v[99:100], v[99:100], v[72:73], -v[87:88]
	v_add_f64 v[87:88], v[133:134], v[121:122]
	v_add_f64 v[85:86], v[85:86], v[129:130]
	;; [unrolled: 1-line block ×3, first 2 shown]
	v_fma_f64 v[101:102], v[101:102], v[72:73], v[123:124]
	v_fma_f64 v[123:124], v[131:132], -0.5, v[95:96]
	v_fma_f64 v[133:134], v[137:138], -0.5, v[95:96]
	v_add_f64 v[83:84], v[83:84], v[125:126]
	v_add_f64 v[95:96], v[121:122], v[127:128]
	;; [unrolled: 1-line block ×5, first 2 shown]
	v_add_f64 v[147:148], v[117:118], -v[101:102]
	v_add_f64 v[149:150], v[101:102], -v[89:90]
	v_add_f64 v[131:132], v[135:136], v[105:106]
	v_add_f64 v[139:140], v[83:84], v[91:92]
	v_fma_f64 v[143:144], v[95:96], -0.5, v[97:98]
	v_add_f64 v[95:96], v[87:88], v[93:94]
	v_add_f64 v[87:88], v[117:118], -v[105:106]
	v_fma_f64 v[145:146], v[85:86], -0.5, v[107:108]
	v_add_f64 v[135:136], v[113:114], v[93:94]
	v_add_f64 v[137:138], v[105:106], v[89:90]
	v_add_f64 v[155:156], v[115:116], -v[103:104]
	v_add_f64 v[83:84], v[139:140], v[141:142]
	v_add_f64 v[157:158], v[99:100], -v[129:130]
	v_add_f64 v[161:162], v[105:106], -v[89:90]
	;; [unrolled: 1-line block ×3, first 2 shown]
	v_fma_f64 v[159:160], v[147:148], s[6:7], v[145:146]
	v_add_f64 v[149:150], v[87:88], v[149:150]
	v_add_f64 v[165:166], v[91:92], -v[125:126]
	v_add_f64 v[167:168], v[113:114], -v[121:122]
	;; [unrolled: 1-line block ×4, first 2 shown]
	v_add_f64 v[139:140], v[117:118], v[101:102]
	v_add_f64 v[131:132], v[131:132], v[89:90]
	v_fma_f64 v[135:136], v[135:136], -0.5, v[97:98]
	v_fma_f64 v[97:98], v[137:138], -0.5, v[109:110]
	v_add_f64 v[153:154], v[103:104], -v[129:130]
	v_add_f64 v[155:156], v[155:156], v[157:158]
	v_fma_f64 v[157:158], v[161:162], s[12:13], v[159:160]
	v_add_f64 v[159:160], v[163:164], v[165:166]
	v_add_f64 v[165:166], v[167:168], v[169:170]
	;; [unrolled: 1-line block ×3, first 2 shown]
	v_fma_f64 v[109:110], v[139:140], -0.5, v[109:110]
	v_add_f64 v[137:138], v[115:116], -v[99:100]
	v_add_f64 v[131:132], v[131:132], v[101:102]
	v_add_f64 v[105:106], v[105:106], -v[117:118]
	v_add_f64 v[89:90], v[89:90], -v[101:102]
	v_add_f64 v[163:164], v[111:112], -v[91:92]
	v_add_f64 v[103:104], v[103:104], -v[115:116]
	v_fma_f64 v[101:102], v[167:168], -0.5, v[107:108]
	v_fma_f64 v[107:108], v[153:154], s[6:7], v[109:110]
	v_fma_f64 v[151:152], v[137:138], s[18:19], v[97:98]
	v_add_f64 v[99:100], v[129:130], -v[99:100]
	v_fma_f64 v[157:158], v[155:156], s[14:15], v[157:158]
	v_add_f64 v[105:106], v[105:106], v[89:90]
	v_fma_f64 v[173:174], v[163:164], s[18:19], v[143:144]
	v_add_f64 v[117:118], v[119:120], -v[125:126]
	v_fma_f64 v[115:116], v[161:162], s[18:19], v[101:102]
	v_fma_f64 v[107:108], v[137:138], s[16:17], v[107:108]
	;; [unrolled: 1-line block ×3, first 2 shown]
	v_add_f64 v[103:104], v[103:104], v[99:100]
	v_add_f64 v[111:112], v[119:120], -v[111:112]
	v_add_f64 v[119:120], v[125:126], -v[91:92]
	;; [unrolled: 1-line block ×3, first 2 shown]
	v_mul_f64 v[167:168], v[157:158], s[16:17]
	v_fma_f64 v[99:100], v[147:148], s[12:13], v[115:116]
	v_fma_f64 v[107:108], v[105:106], s[14:15], v[107:108]
	;; [unrolled: 1-line block ×3, first 2 shown]
	v_add_f64 v[151:152], v[113:114], -v[93:94]
	v_fma_f64 v[129:130], v[117:118], s[16:17], v[173:174]
	v_add_f64 v[113:114], v[121:122], -v[113:114]
	v_add_f64 v[125:126], v[127:128], -v[93:94]
	v_add_f64 v[111:112], v[111:112], v[119:120]
	v_fma_f64 v[99:100], v[103:104], s[14:15], v[99:100]
	v_mul_f64 v[127:128], v[107:108], s[6:7]
	v_fma_f64 v[119:120], v[117:118], s[6:7], v[135:136]
	v_fma_f64 v[101:102], v[161:162], s[6:7], v[101:102]
	;; [unrolled: 1-line block ×3, first 2 shown]
	v_add_f64 v[85:86], v[95:96], v[131:132]
	v_add_f64 v[89:90], v[95:96], -v[131:132]
	v_fma_f64 v[131:132], v[141:142], s[20:21], v[167:168]
	v_fma_f64 v[115:116], v[165:166], s[14:15], v[129:130]
	v_add_f64 v[113:114], v[113:114], v[125:126]
	v_fma_f64 v[125:126], v[99:100], s[14:15], v[127:128]
	v_fma_f64 v[119:120], v[163:164], s[16:17], v[119:120]
	;; [unrolled: 1-line block ×6, first 2 shown]
	v_add_f64 v[93:94], v[115:116], v[131:132]
	v_add_f64 v[97:98], v[115:116], -v[131:132]
	v_fma_f64 v[169:170], v[151:152], s[6:7], v[123:124]
	v_fma_f64 v[115:116], v[113:114], s[14:15], v[119:120]
	;; [unrolled: 1-line block ×13, first 2 shown]
	v_mul_f64 v[139:140], v[141:142], s[12:13]
	v_fma_f64 v[169:170], v[171:172], s[12:13], v[169:170]
	v_fma_f64 v[121:122], v[151:152], s[12:13], v[121:122]
	v_mul_f64 v[99:100], v[99:100], s[18:19]
	v_fma_f64 v[127:128], v[151:152], s[16:17], v[129:130]
	v_fma_f64 v[129:130], v[163:164], s[12:13], v[131:132]
	v_mul_f64 v[131:132], v[101:102], s[22:23]
	v_mul_f64 v[133:134], v[103:104], s[22:23]
	v_fma_f64 v[105:106], v[171:172], s[16:17], v[105:106]
	v_fma_f64 v[109:110], v[117:118], s[12:13], v[109:110]
	v_mul_f64 v[117:118], v[119:120], s[24:25]
	v_mul_f64 v[135:136], v[123:124], s[24:25]
	v_fma_f64 v[95:96], v[157:158], s[20:21], v[139:140]
	v_fma_f64 v[139:140], v[159:160], s[14:15], v[169:170]
	;; [unrolled: 1-line block ×12, first 2 shown]
	v_add_f64 v[91:92], v[139:140], v[95:96]
	v_add_f64 v[99:100], v[121:122], v[125:126]
	;; [unrolled: 1-line block ×3, first 2 shown]
	v_add_f64 v[105:106], v[115:116], -v[107:108]
	v_add_f64 v[107:108], v[111:112], v[127:128]
	v_add_f64 v[109:110], v[113:114], v[129:130]
	;; [unrolled: 1-line block ×4, first 2 shown]
	v_add_f64 v[95:96], v[139:140], -v[95:96]
	v_add_f64 v[103:104], v[121:122], -v[125:126]
	;; [unrolled: 1-line block ×6, first 2 shown]
	ds_write_b128 v80, v[83:86]
	ds_write_b128 v80, v[91:94] offset:160
	ds_write_b128 v80, v[99:102] offset:320
	ds_write_b128 v80, v[107:110] offset:480
	ds_write_b128 v80, v[115:118] offset:640
	ds_write_b128 v80, v[87:90] offset:800
	ds_write_b128 v80, v[95:98] offset:960
	ds_write_b128 v80, v[103:106] offset:1120
	ds_write_b128 v80, v[111:114] offset:1280
	ds_write_b128 v80, v[119:122] offset:1440
	s_waitcnt lgkmcnt(0)
	; wave barrier
	s_waitcnt lgkmcnt(0)
	global_load_dwordx4 v[83:86], v81, s[8:9] offset:1600
	global_load_dwordx4 v[87:90], v81, s[26:27] offset:160
	;; [unrolled: 1-line block ×10, first 2 shown]
	ds_read_b128 v[123:126], v80
	ds_read_b128 v[127:130], v80 offset:160
	ds_read_b128 v[131:134], v80 offset:320
	s_waitcnt vmcnt(9) lgkmcnt(2)
	v_mul_f64 v[135:136], v[125:126], v[85:86]
	v_mul_f64 v[85:86], v[123:124], v[85:86]
	s_waitcnt vmcnt(8) lgkmcnt(1)
	v_mul_f64 v[137:138], v[129:130], v[89:90]
	v_mul_f64 v[89:90], v[127:128], v[89:90]
	v_fma_f64 v[123:124], v[123:124], v[83:84], -v[135:136]
	v_fma_f64 v[125:126], v[125:126], v[83:84], v[85:86]
	v_fma_f64 v[83:84], v[127:128], v[87:88], -v[137:138]
	ds_read_b128 v[135:138], v80 offset:480
	s_waitcnt vmcnt(7) lgkmcnt(1)
	v_mul_f64 v[139:140], v[133:134], v[93:94]
	v_fma_f64 v[85:86], v[129:130], v[87:88], v[89:90]
	ds_read_b128 v[87:90], v80 offset:640
	ds_read_b128 v[127:130], v80 offset:800
	v_mul_f64 v[93:94], v[131:132], v[93:94]
	s_waitcnt vmcnt(6) lgkmcnt(2)
	v_mul_f64 v[141:142], v[137:138], v[97:98]
	v_mul_f64 v[97:98], v[135:136], v[97:98]
	s_waitcnt vmcnt(5) lgkmcnt(1)
	v_mul_f64 v[143:144], v[89:90], v[101:102]
	v_fma_f64 v[131:132], v[131:132], v[91:92], -v[139:140]
	v_mul_f64 v[101:102], v[87:88], v[101:102]
	s_waitcnt vmcnt(4) lgkmcnt(0)
	v_mul_f64 v[139:140], v[129:130], v[105:106]
	v_mul_f64 v[105:106], v[127:128], v[105:106]
	v_fma_f64 v[133:134], v[133:134], v[91:92], v[93:94]
	v_fma_f64 v[91:92], v[135:136], v[95:96], -v[141:142]
	v_fma_f64 v[93:94], v[137:138], v[95:96], v[97:98]
	ds_read_b128 v[95:98], v80 offset:960
	v_fma_f64 v[87:88], v[87:88], v[99:100], -v[143:144]
	v_fma_f64 v[89:90], v[89:90], v[99:100], v[101:102]
	v_fma_f64 v[99:100], v[127:128], v[103:104], -v[139:140]
	v_fma_f64 v[101:102], v[129:130], v[103:104], v[105:106]
	ds_read_b128 v[103:106], v80 offset:1120
	ds_read_b128 v[127:130], v80 offset:1280
	;; [unrolled: 1-line block ×3, first 2 shown]
	s_waitcnt vmcnt(3) lgkmcnt(3)
	v_mul_f64 v[139:140], v[97:98], v[109:110]
	v_mul_f64 v[109:110], v[95:96], v[109:110]
	s_waitcnt vmcnt(2) lgkmcnt(2)
	v_mul_f64 v[141:142], v[105:106], v[113:114]
	v_mul_f64 v[113:114], v[103:104], v[113:114]
	;; [unrolled: 3-line block ×4, first 2 shown]
	v_fma_f64 v[95:96], v[95:96], v[107:108], -v[139:140]
	v_fma_f64 v[97:98], v[97:98], v[107:108], v[109:110]
	v_fma_f64 v[103:104], v[103:104], v[111:112], -v[141:142]
	v_fma_f64 v[105:106], v[105:106], v[111:112], v[113:114]
	v_fma_f64 v[107:108], v[127:128], v[115:116], -v[143:144]
	v_fma_f64 v[109:110], v[129:130], v[115:116], v[117:118]
	v_fma_f64 v[111:112], v[135:136], v[119:120], -v[145:146]
	v_fma_f64 v[113:114], v[137:138], v[119:120], v[121:122]
	ds_write_b128 v80, v[123:126]
	ds_write_b128 v80, v[83:86] offset:160
	ds_write_b128 v80, v[131:134] offset:320
	ds_write_b128 v80, v[91:94] offset:480
	ds_write_b128 v80, v[87:90] offset:640
	ds_write_b128 v80, v[99:102] offset:800
	ds_write_b128 v80, v[95:98] offset:960
	ds_write_b128 v80, v[103:106] offset:1120
	ds_write_b128 v80, v[107:110] offset:1280
	ds_write_b128 v80, v[111:114] offset:1440
	s_waitcnt lgkmcnt(0)
	; wave barrier
	s_waitcnt lgkmcnt(0)
	ds_read_b128 v[83:86], v80 offset:320
	ds_read_b128 v[87:90], v80
	ds_read_b128 v[91:94], v80 offset:160
	ds_read_b128 v[95:98], v80 offset:480
	;; [unrolled: 1-line block ×5, first 2 shown]
	s_waitcnt lgkmcnt(5)
	v_add_f64 v[111:112], v[87:88], v[83:84]
	v_add_f64 v[115:116], v[89:90], v[85:86]
	s_waitcnt lgkmcnt(3)
	v_add_f64 v[145:146], v[93:94], v[97:98]
	s_waitcnt lgkmcnt(2)
	v_add_f64 v[127:128], v[83:84], -v[99:100]
	v_add_f64 v[129:130], v[99:100], -v[83:84]
	;; [unrolled: 1-line block ×4, first 2 shown]
	s_waitcnt lgkmcnt(1)
	v_add_f64 v[121:122], v[99:100], v[103:104]
	v_add_f64 v[119:120], v[111:112], v[99:100]
	;; [unrolled: 1-line block ×3, first 2 shown]
	ds_read_b128 v[111:114], v80 offset:1120
	ds_read_b128 v[115:118], v80 offset:1280
	v_add_f64 v[133:134], v[99:100], -v[103:104]
	v_add_f64 v[123:124], v[101:102], -v[105:106]
	v_add_f64 v[131:132], v[101:102], v[105:106]
	s_waitcnt lgkmcnt(1)
	v_add_f64 v[151:152], v[109:110], v[113:114]
	s_waitcnt lgkmcnt(0)
	v_add_f64 v[139:140], v[85:86], -v[117:118]
	v_add_f64 v[141:142], v[83:84], v[115:116]
	v_add_f64 v[143:144], v[83:84], -v[115:116]
	v_add_f64 v[83:84], v[85:86], v[117:118]
	v_add_f64 v[85:86], v[119:120], v[103:104]
	;; [unrolled: 1-line block ×4, first 2 shown]
	v_add_f64 v[147:148], v[115:116], -v[103:104]
	v_add_f64 v[103:104], v[103:104], -v[115:116]
	ds_read_b128 v[99:102], v80 offset:1440
	v_add_f64 v[149:150], v[117:118], -v[105:106]
	v_add_f64 v[105:106], v[105:106], -v[117:118]
	v_add_f64 v[115:116], v[85:86], v[115:116]
	v_add_f64 v[117:118], v[119:120], v[117:118]
	;; [unrolled: 1-line block ×5, first 2 shown]
	s_waitcnt lgkmcnt(0)
	v_add_f64 v[159:160], v[97:98], -v[101:102]
	v_add_f64 v[161:162], v[95:96], -v[99:100]
	v_fma_f64 v[151:152], v[151:152], -0.5, v[93:94]
	v_add_f64 v[145:146], v[109:110], -v[113:114]
	v_add_f64 v[153:154], v[95:96], -v[107:108]
	v_add_f64 v[85:86], v[85:86], v[111:112]
	v_fma_f64 v[125:126], v[125:126], -0.5, v[91:92]
	v_add_f64 v[155:156], v[107:108], -v[95:96]
	v_add_f64 v[107:108], v[107:108], -v[111:112]
	;; [unrolled: 1-line block ×4, first 2 shown]
	v_add_f64 v[95:96], v[95:96], v[99:100]
	v_add_f64 v[97:98], v[97:98], v[101:102]
	;; [unrolled: 1-line block ×3, first 2 shown]
	v_add_f64 v[163:164], v[99:100], -v[111:112]
	v_add_f64 v[165:166], v[101:102], -v[113:114]
	v_fma_f64 v[167:168], v[161:162], s[6:7], v[151:152]
	v_add_f64 v[111:112], v[111:112], -v[99:100]
	v_add_f64 v[99:100], v[85:86], v[99:100]
	v_fma_f64 v[85:86], v[159:160], s[18:19], v[125:126]
	v_add_f64 v[113:114], v[113:114], -v[101:102]
	v_add_f64 v[101:102], v[119:120], v[101:102]
	v_fma_f64 v[119:120], v[121:122], -0.5, v[87:88]
	v_add_f64 v[121:122], v[157:158], v[165:166]
	v_fma_f64 v[157:158], v[107:108], s[12:13], v[167:168]
	v_fma_f64 v[97:98], v[97:98], -0.5, v[93:94]
	v_add_f64 v[153:154], v[153:154], v[163:164]
	v_fma_f64 v[93:94], v[145:146], s[16:17], v[85:86]
	v_fma_f64 v[131:132], v[131:132], -0.5, v[89:90]
	v_fma_f64 v[163:164], v[83:84], -0.5, v[89:90]
	;; [unrolled: 1-line block ×4, first 2 shown]
	v_fma_f64 v[89:90], v[121:122], s[14:15], v[157:158]
	v_fma_f64 v[91:92], v[107:108], s[18:19], v[97:98]
	v_add_f64 v[83:84], v[115:116], v[99:100]
	v_fma_f64 v[93:94], v[153:154], s[14:15], v[93:94]
	v_add_f64 v[87:88], v[115:116], -v[99:100]
	v_add_f64 v[115:116], v[127:128], v[147:148]
	v_fma_f64 v[127:128], v[143:144], s[6:7], v[131:132]
	v_add_f64 v[109:110], v[109:110], v[113:114]
	v_mul_f64 v[99:100], v[89:90], s[16:17]
	v_fma_f64 v[113:114], v[145:146], s[6:7], v[165:166]
	v_fma_f64 v[91:92], v[161:162], s[12:13], v[91:92]
	v_mul_f64 v[147:148], v[93:94], s[12:13]
	v_add_f64 v[111:112], v[155:156], v[111:112]
	v_add_f64 v[135:136], v[135:136], v[149:150]
	;; [unrolled: 1-line block ×4, first 2 shown]
	v_fma_f64 v[99:100], v[93:94], s[20:21], v[99:100]
	v_fma_f64 v[93:94], v[133:134], s[12:13], v[127:128]
	;; [unrolled: 1-line block ×7, first 2 shown]
	v_add_f64 v[85:86], v[117:118], v[101:102]
	v_fma_f64 v[125:126], v[159:160], s[6:7], v[125:126]
	v_fma_f64 v[149:150], v[135:136], s[14:15], v[93:94]
	;; [unrolled: 1-line block ×3, first 2 shown]
	v_mul_f64 v[129:130], v[91:92], s[18:19]
	v_mul_f64 v[137:138], v[91:92], s[14:15]
	v_fma_f64 v[147:148], v[143:144], s[12:13], v[147:148]
	v_fma_f64 v[155:156], v[139:140], s[16:17], v[89:90]
	v_add_f64 v[89:90], v[117:118], -v[101:102]
	v_fma_f64 v[101:102], v[107:108], s[6:7], v[97:98]
	v_add_f64 v[93:94], v[149:150], v[127:128]
	v_add_f64 v[97:98], v[149:150], -v[127:128]
	v_fma_f64 v[117:118], v[113:114], s[14:15], v[129:130]
	v_fma_f64 v[113:114], v[113:114], s[6:7], v[137:138]
	;; [unrolled: 1-line block ×22, first 2 shown]
	v_mul_f64 v[127:128], v[109:110], s[18:19]
	v_mul_f64 v[109:110], v[109:110], s[22:23]
	v_fma_f64 v[125:126], v[153:154], s[14:15], v[125:126]
	v_fma_f64 v[95:96], v[115:116], s[14:15], v[95:96]
	;; [unrolled: 1-line block ×3, first 2 shown]
	v_mul_f64 v[131:132], v[107:108], s[16:17]
	v_mul_f64 v[107:108], v[107:108], s[24:25]
	v_fma_f64 v[133:134], v[103:104], s[14:15], v[141:142]
	v_fma_f64 v[121:122], v[105:106], s[14:15], v[121:122]
	;; [unrolled: 1-line block ×8, first 2 shown]
	v_add_f64 v[91:92], v[95:96], v[99:100]
	v_add_f64 v[95:96], v[95:96], -v[99:100]
	v_add_f64 v[99:100], v[129:130], v[117:118]
	v_add_f64 v[101:102], v[137:138], v[113:114]
	;; [unrolled: 1-line block ×4, first 2 shown]
	v_add_f64 v[103:104], v[129:130], -v[117:118]
	v_add_f64 v[115:116], v[119:120], v[131:132]
	v_add_f64 v[117:118], v[123:124], v[125:126]
	v_add_f64 v[105:106], v[137:138], -v[113:114]
	v_add_f64 v[111:112], v[133:134], -v[127:128]
	;; [unrolled: 1-line block ×5, first 2 shown]
	s_waitcnt lgkmcnt(0)
	; wave barrier
	ds_write_b128 v82, v[83:86]
	ds_write_b128 v82, v[91:94] offset:16
	ds_write_b128 v82, v[99:102] offset:32
	;; [unrolled: 1-line block ×9, first 2 shown]
	s_waitcnt lgkmcnt(0)
	; wave barrier
	s_waitcnt lgkmcnt(0)
	ds_read_b128 v[81:84], v80 offset:160
	ds_read_b128 v[85:88], v80
	ds_read_b128 v[89:92], v80 offset:320
	ds_read_b128 v[93:96], v80 offset:480
	;; [unrolled: 1-line block ×4, first 2 shown]
	s_waitcnt lgkmcnt(5)
	v_mul_f64 v[105:106], v[54:55], v[83:84]
	v_mul_f64 v[54:55], v[54:55], v[81:82]
	s_waitcnt lgkmcnt(3)
	v_mul_f64 v[109:110], v[50:51], v[91:92]
	v_mul_f64 v[111:112], v[50:51], v[89:90]
	s_waitcnt lgkmcnt(2)
	v_mul_f64 v[115:116], v[46:47], v[95:96]
	v_fma_f64 v[113:114], v[52:53], v[81:82], v[105:106]
	ds_read_b128 v[105:108], v80 offset:960
	v_fma_f64 v[54:55], v[52:53], v[83:84], -v[54:55]
	ds_read_b128 v[50:53], v80 offset:1120
	s_waitcnt lgkmcnt(3)
	v_mul_f64 v[81:82], v[42:43], v[99:100]
	v_mul_f64 v[42:43], v[42:43], v[97:98]
	s_waitcnt lgkmcnt(1)
	v_mul_f64 v[83:84], v[62:63], v[107:108]
	v_fma_f64 v[89:90], v[48:49], v[89:90], v[109:110]
	v_fma_f64 v[91:92], v[48:49], v[91:92], -v[111:112]
	v_mul_f64 v[109:110], v[46:47], v[93:94]
	ds_read_b128 v[46:49], v80 offset:1280
	v_mul_f64 v[111:112], v[66:67], v[103:104]
	v_fma_f64 v[97:98], v[40:41], v[97:98], v[81:82]
	v_fma_f64 v[40:41], v[40:41], v[99:100], -v[42:43]
	v_fma_f64 v[117:118], v[60:61], v[105:106], v[83:84]
	ds_read_b128 v[81:84], v80 offset:1440
	s_waitcnt lgkmcnt(1)
	v_mul_f64 v[119:120], v[70:71], v[46:47]
	v_mul_f64 v[42:43], v[70:71], v[48:49]
	v_fma_f64 v[93:94], v[44:45], v[93:94], v[115:116]
	v_fma_f64 v[44:45], v[44:45], v[95:96], -v[109:110]
	v_mul_f64 v[66:67], v[66:67], v[101:102]
	v_mul_f64 v[62:63], v[62:63], v[105:106]
	v_add_f64 v[95:96], v[97:98], v[117:118]
	v_mul_f64 v[99:100], v[58:59], v[52:53]
	v_fma_f64 v[48:49], v[68:69], v[48:49], -v[119:120]
	v_mul_f64 v[58:59], v[58:59], v[50:51]
	v_fma_f64 v[42:43], v[68:69], v[46:47], v[42:43]
	v_fma_f64 v[70:71], v[64:65], v[101:102], v[111:112]
	v_fma_f64 v[64:65], v[64:65], v[103:104], -v[66:67]
	v_add_f64 v[46:47], v[85:86], v[89:90]
	v_fma_f64 v[66:67], v[95:96], -0.5, v[85:86]
	v_fma_f64 v[60:61], v[60:61], v[107:108], -v[62:63]
	v_add_f64 v[68:69], v[91:92], -v[48:49]
	v_fma_f64 v[52:53], v[56:57], v[52:53], -v[58:59]
	v_add_f64 v[58:59], v[89:90], v[42:43]
	v_fma_f64 v[50:51], v[56:57], v[50:51], v[99:100]
	s_waitcnt lgkmcnt(0)
	v_mul_f64 v[56:57], v[74:75], v[83:84]
	v_mul_f64 v[62:63], v[74:75], v[81:82]
	v_add_f64 v[46:47], v[46:47], v[97:98]
	v_add_f64 v[95:96], v[40:41], -v[60:61]
	v_fma_f64 v[74:75], v[68:69], s[18:19], v[66:67]
	v_add_f64 v[99:100], v[89:90], -v[97:98]
	v_add_f64 v[101:102], v[42:43], -v[117:118]
	v_fma_f64 v[66:67], v[68:69], s[6:7], v[66:67]
	v_fma_f64 v[58:59], v[58:59], -0.5, v[85:86]
	v_fma_f64 v[56:57], v[72:73], v[81:82], v[56:57]
	v_fma_f64 v[62:63], v[72:73], v[83:84], -v[62:63]
	v_add_f64 v[46:47], v[46:47], v[117:118]
	v_add_f64 v[72:73], v[40:41], v[60:61]
	v_fma_f64 v[74:75], v[95:96], s[16:17], v[74:75]
	v_add_f64 v[81:82], v[99:100], v[101:102]
	v_fma_f64 v[66:67], v[95:96], s[12:13], v[66:67]
	v_fma_f64 v[83:84], v[95:96], s[6:7], v[58:59]
	v_add_f64 v[85:86], v[97:98], -v[89:90]
	v_add_f64 v[99:100], v[117:118], -v[42:43]
	v_add_f64 v[101:102], v[87:88], v[91:92]
	v_fma_f64 v[72:73], v[72:73], -0.5, v[87:88]
	v_add_f64 v[89:90], v[89:90], -v[42:43]
	v_add_f64 v[103:104], v[46:47], v[42:43]
	v_fma_f64 v[74:75], v[81:82], s[14:15], v[74:75]
	v_fma_f64 v[66:67], v[81:82], s[14:15], v[66:67]
	;; [unrolled: 1-line block ×3, first 2 shown]
	v_add_f64 v[46:47], v[85:86], v[99:100]
	v_fma_f64 v[58:59], v[95:96], s[18:19], v[58:59]
	v_add_f64 v[81:82], v[101:102], v[40:41]
	v_add_f64 v[99:100], v[91:92], v[48:49]
	v_fma_f64 v[83:84], v[89:90], s[6:7], v[72:73]
	v_add_f64 v[85:86], v[97:98], -v[117:118]
	v_add_f64 v[95:96], v[91:92], -v[40:41]
	;; [unrolled: 1-line block ×3, first 2 shown]
	v_fma_f64 v[72:73], v[89:90], s[18:19], v[72:73]
	v_fma_f64 v[58:59], v[68:69], s[12:13], v[58:59]
	v_add_f64 v[68:69], v[81:82], v[60:61]
	v_fma_f64 v[81:82], v[46:47], s[14:15], v[42:43]
	v_add_f64 v[42:43], v[70:71], v[50:51]
	v_fma_f64 v[87:88], v[99:100], -0.5, v[87:88]
	v_fma_f64 v[83:84], v[85:86], s[12:13], v[83:84]
	v_add_f64 v[95:96], v[95:96], v[97:98]
	v_fma_f64 v[72:73], v[85:86], s[16:17], v[72:73]
	v_fma_f64 v[97:98], v[46:47], s[14:15], v[58:59]
	v_add_f64 v[99:100], v[68:69], v[48:49]
	v_add_f64 v[46:47], v[113:114], v[93:94]
	v_fma_f64 v[42:43], v[42:43], -0.5, v[113:114]
	v_add_f64 v[58:59], v[44:45], -v[62:63]
	v_fma_f64 v[68:69], v[85:86], s[18:19], v[87:88]
	v_add_f64 v[40:41], v[40:41], -v[91:92]
	v_add_f64 v[48:49], v[60:61], -v[48:49]
	v_fma_f64 v[60:61], v[85:86], s[6:7], v[87:88]
	v_add_f64 v[87:88], v[93:94], v[56:57]
	v_fma_f64 v[83:84], v[95:96], s[14:15], v[83:84]
	v_fma_f64 v[95:96], v[95:96], s[14:15], v[72:73]
	v_add_f64 v[46:47], v[46:47], v[70:71]
	v_fma_f64 v[72:73], v[58:59], s[18:19], v[42:43]
	v_add_f64 v[85:86], v[64:65], -v[52:53]
	v_add_f64 v[91:92], v[93:94], -v[70:71]
	;; [unrolled: 1-line block ×3, first 2 shown]
	v_add_f64 v[105:106], v[64:65], v[52:53]
	v_fma_f64 v[68:69], v[89:90], s[12:13], v[68:69]
	v_add_f64 v[40:41], v[40:41], v[48:49]
	v_fma_f64 v[48:49], v[89:90], s[16:17], v[60:61]
	v_fma_f64 v[60:61], v[87:88], -0.5, v[113:114]
	v_add_f64 v[46:47], v[46:47], v[50:51]
	v_fma_f64 v[72:73], v[85:86], s[16:17], v[72:73]
	v_add_f64 v[87:88], v[91:92], v[101:102]
	v_fma_f64 v[89:90], v[105:106], -0.5, v[54:55]
	v_add_f64 v[91:92], v[93:94], -v[56:57]
	v_fma_f64 v[101:102], v[40:41], s[14:15], v[68:69]
	v_add_f64 v[68:69], v[44:45], v[62:63]
	v_fma_f64 v[105:106], v[85:86], s[6:7], v[60:61]
	v_fma_f64 v[107:108], v[40:41], s[14:15], v[48:49]
	v_add_f64 v[109:110], v[46:47], v[56:57]
	v_fma_f64 v[46:47], v[87:88], s[14:15], v[72:73]
	v_add_f64 v[48:49], v[70:71], -v[50:51]
	v_fma_f64 v[40:41], v[91:92], s[6:7], v[89:90]
	v_add_f64 v[70:71], v[70:71], -v[93:94]
	v_fma_f64 v[68:69], v[68:69], -0.5, v[54:55]
	v_fma_f64 v[72:73], v[58:59], s[16:17], v[105:106]
	v_add_f64 v[93:94], v[44:45], -v[64:65]
	v_add_f64 v[105:106], v[62:63], -v[52:53]
	v_add_f64 v[54:55], v[54:55], v[44:45]
	v_add_f64 v[44:45], v[64:65], -v[44:45]
	v_fma_f64 v[40:41], v[48:49], s[12:13], v[40:41]
	v_add_f64 v[113:114], v[52:53], -v[62:63]
	v_fma_f64 v[111:112], v[48:49], s[18:19], v[68:69]
	v_fma_f64 v[68:69], v[48:49], s[6:7], v[68:69]
	v_fma_f64 v[89:90], v[91:92], s[18:19], v[89:90]
	v_add_f64 v[93:94], v[93:94], v[105:106]
	v_add_f64 v[50:51], v[50:51], -v[56:57]
	v_fma_f64 v[56:57], v[85:86], s[18:19], v[60:61]
	v_add_f64 v[54:55], v[54:55], v[64:65]
	v_add_f64 v[44:45], v[44:45], v[113:114]
	v_fma_f64 v[60:61], v[91:92], s[12:13], v[111:112]
	v_fma_f64 v[64:65], v[91:92], s[16:17], v[68:69]
	;; [unrolled: 1-line block ×5, first 2 shown]
	v_add_f64 v[40:41], v[70:71], v[50:51]
	v_fma_f64 v[50:51], v[58:59], s[12:13], v[56:57]
	v_add_f64 v[52:53], v[54:55], v[52:53]
	v_fma_f64 v[54:55], v[44:45], s[14:15], v[60:61]
	v_fma_f64 v[44:45], v[44:45], s[14:15], v[64:65]
	;; [unrolled: 1-line block ×3, first 2 shown]
	v_mul_f64 v[56:57], v[68:69], s[16:17]
	v_fma_f64 v[48:49], v[93:94], s[14:15], v[48:49]
	v_fma_f64 v[58:59], v[40:41], s[14:15], v[72:73]
	;; [unrolled: 1-line block ×3, first 2 shown]
	v_add_f64 v[62:63], v[52:53], v[62:63]
	v_mul_f64 v[52:53], v[54:55], s[18:19]
	v_mul_f64 v[54:55], v[54:55], s[14:15]
	;; [unrolled: 1-line block ×3, first 2 shown]
	v_fma_f64 v[70:71], v[46:47], s[20:21], v[56:57]
	v_mul_f64 v[56:57], v[68:69], s[20:21]
	v_mul_f64 v[68:69], v[44:45], s[22:23]
	v_fma_f64 v[42:43], v[87:88], s[14:15], v[42:43]
	v_mul_f64 v[64:65], v[48:49], s[16:17]
	v_mul_f64 v[48:49], v[48:49], s[24:25]
	v_fma_f64 v[72:73], v[58:59], s[14:15], v[52:53]
	v_fma_f64 v[91:92], v[58:59], s[6:7], v[54:55]
	;; [unrolled: 1-line block ×5, first 2 shown]
	v_add_f64 v[40:41], v[103:104], v[109:110]
	v_fma_f64 v[87:88], v[42:43], s[24:25], v[64:65]
	v_fma_f64 v[105:106], v[42:43], s[12:13], v[48:49]
	v_add_f64 v[42:43], v[99:100], v[62:63]
	v_add_f64 v[44:45], v[74:75], v[70:71]
	v_add_f64 v[48:49], v[81:82], v[72:73]
	v_add_f64 v[46:47], v[83:84], v[89:90]
	v_add_f64 v[50:51], v[101:102], v[91:92]
	v_add_f64 v[52:53], v[97:98], v[85:86]
	v_add_f64 v[54:55], v[107:108], v[93:94]
	v_add_f64 v[56:57], v[66:67], v[87:88]
	v_add_f64 v[58:59], v[95:96], v[105:106]
	v_add_f64 v[60:61], v[103:104], -v[109:110]
	v_add_f64 v[62:63], v[99:100], -v[62:63]
	;; [unrolled: 1-line block ×10, first 2 shown]
	ds_write_b128 v80, v[40:43]
	ds_write_b128 v80, v[44:47] offset:160
	ds_write_b128 v80, v[48:51] offset:320
	;; [unrolled: 1-line block ×9, first 2 shown]
	s_waitcnt lgkmcnt(0)
	; wave barrier
	s_waitcnt lgkmcnt(0)
	ds_read_b128 v[40:43], v80
	ds_read_b128 v[44:47], v80 offset:160
	v_mad_u64_u32 v[48:49], s[6:7], s2, v76, 0
	s_waitcnt lgkmcnt(1)
	v_mul_f64 v[50:51], v[34:35], v[42:43]
	v_mul_f64 v[34:35], v[34:35], v[40:41]
	v_mad_u64_u32 v[52:53], s[2:3], s3, v76, v[49:50]
	v_mad_u64_u32 v[53:54], s[2:3], s0, v78, 0
	v_fma_f64 v[40:41], v[32:33], v[40:41], v[50:51]
	v_fma_f64 v[34:35], v[32:33], v[42:43], -v[34:35]
	v_mov_b32_e32 v32, v54
	v_mad_u64_u32 v[42:43], s[2:3], s1, v78, v[32:33]
	s_mov_b32 s2, 0x47ae147b
	s_mov_b32 s3, 0x3f847ae1
	v_mov_b32_e32 v54, v42
	s_waitcnt lgkmcnt(0)
	v_mul_f64 v[42:43], v[18:19], v[46:47]
	v_mul_f64 v[18:19], v[18:19], v[44:45]
	v_mov_b32_e32 v49, v52
	v_mul_f64 v[32:33], v[40:41], s[2:3]
	v_mul_f64 v[34:35], v[34:35], s[2:3]
	v_lshlrev_b64 v[40:41], 4, v[48:49]
	v_mov_b32_e32 v48, s5
	v_add_co_u32_e32 v50, vcc, s4, v40
	v_fma_f64 v[42:43], v[16:17], v[44:45], v[42:43]
	v_fma_f64 v[44:45], v[16:17], v[46:47], -v[18:19]
	ds_read_b128 v[16:19], v80 offset:320
	v_addc_co_u32_e32 v51, vcc, v48, v41, vcc
	v_lshlrev_b64 v[40:41], 4, v[53:54]
	s_mul_i32 s4, s1, 0xa0
	v_add_co_u32_e32 v46, vcc, v50, v40
	v_addc_co_u32_e32 v47, vcc, v51, v41, vcc
	global_store_dwordx4 v[46:47], v[32:35], off
	s_mul_hi_u32 s5, s0, 0xa0
	v_mul_f64 v[32:33], v[42:43], s[2:3]
	ds_read_b128 v[40:43], v80 offset:480
	s_waitcnt lgkmcnt(1)
	v_mul_f64 v[48:49], v[22:23], v[18:19]
	v_mul_f64 v[22:23], v[22:23], v[16:17]
	;; [unrolled: 1-line block ×3, first 2 shown]
	s_add_i32 s5, s5, s4
	s_waitcnt lgkmcnt(0)
	v_mul_f64 v[44:45], v[6:7], v[42:43]
	v_mul_f64 v[6:7], v[6:7], v[40:41]
	s_mul_i32 s4, s0, 0xa0
	v_mov_b32_e32 v52, s5
	v_fma_f64 v[16:17], v[20:21], v[16:17], v[48:49]
	v_fma_f64 v[18:19], v[20:21], v[18:19], -v[22:23]
	ds_read_b128 v[20:23], v80 offset:640
	v_add_co_u32_e32 v46, vcc, s4, v46
	v_addc_co_u32_e32 v47, vcc, v47, v52, vcc
	global_store_dwordx4 v[46:47], v[32:35], off
	v_mul_f64 v[16:17], v[16:17], s[2:3]
	v_mul_f64 v[18:19], v[18:19], s[2:3]
	v_fma_f64 v[32:33], v[4:5], v[40:41], v[44:45]
	v_fma_f64 v[34:35], v[4:5], v[42:43], -v[6:7]
	ds_read_b128 v[4:7], v80 offset:800
	s_waitcnt lgkmcnt(1)
	v_mul_f64 v[40:41], v[26:27], v[22:23]
	v_mul_f64 v[26:27], v[26:27], v[20:21]
	v_mov_b32_e32 v48, s5
	v_add_co_u32_e32 v42, vcc, s4, v46
	v_addc_co_u32_e32 v43, vcc, v47, v48, vcc
	global_store_dwordx4 v[42:43], v[16:19], off
	v_fma_f64 v[20:21], v[24:25], v[20:21], v[40:41]
	v_mul_f64 v[16:17], v[32:33], s[2:3]
	v_mul_f64 v[18:19], v[34:35], s[2:3]
	v_fma_f64 v[22:23], v[24:25], v[22:23], -v[26:27]
	s_waitcnt lgkmcnt(0)
	v_mul_f64 v[24:25], v[2:3], v[6:7]
	v_mul_f64 v[2:3], v[2:3], v[4:5]
	v_mov_b32_e32 v32, s5
	v_add_co_u32_e32 v26, vcc, s4, v42
	v_addc_co_u32_e32 v27, vcc, v43, v32, vcc
	global_store_dwordx4 v[26:27], v[16:19], off
	v_fma_f64 v[4:5], v[0:1], v[4:5], v[24:25]
	v_mul_f64 v[16:17], v[20:21], s[2:3]
	v_mul_f64 v[18:19], v[22:23], s[2:3]
	ds_read_b128 v[20:23], v80 offset:960
	v_fma_f64 v[6:7], v[0:1], v[6:7], -v[2:3]
	ds_read_b128 v[0:3], v80 offset:1120
	v_mov_b32_e32 v34, s5
	v_add_co_u32_e32 v26, vcc, s4, v26
	s_waitcnt lgkmcnt(1)
	v_mul_f64 v[24:25], v[38:39], v[22:23]
	v_mul_f64 v[32:33], v[38:39], v[20:21]
	v_addc_co_u32_e32 v27, vcc, v27, v34, vcc
	global_store_dwordx4 v[26:27], v[16:19], off
	v_mul_f64 v[4:5], v[4:5], s[2:3]
	v_mul_f64 v[6:7], v[6:7], s[2:3]
	v_fma_f64 v[16:17], v[36:37], v[20:21], v[24:25]
	v_fma_f64 v[18:19], v[36:37], v[22:23], -v[32:33]
	s_waitcnt lgkmcnt(0)
	v_mul_f64 v[20:21], v[30:31], v[2:3]
	v_mul_f64 v[22:23], v[30:31], v[0:1]
	v_add_co_u32_e32 v24, vcc, s4, v26
	v_addc_co_u32_e32 v25, vcc, v27, v34, vcc
	global_store_dwordx4 v[24:25], v[4:7], off
	v_mov_b32_e32 v26, s5
	v_mul_f64 v[4:5], v[16:17], s[2:3]
	v_mul_f64 v[6:7], v[18:19], s[2:3]
	v_fma_f64 v[16:17], v[28:29], v[0:1], v[20:21]
	v_fma_f64 v[18:19], v[28:29], v[2:3], -v[22:23]
	v_add_co_u32_e32 v20, vcc, s4, v24
	v_addc_co_u32_e32 v21, vcc, v25, v26, vcc
	ds_read_b128 v[0:3], v80 offset:1280
	global_store_dwordx4 v[20:21], v[4:7], off
	v_mad_u64_u32 v[24:25], s[6:7], s0, v77, 0
	v_mul_f64 v[4:5], v[16:17], s[2:3]
	v_mul_f64 v[6:7], v[18:19], s[2:3]
	ds_read_b128 v[16:19], v80 offset:1440
	s_waitcnt lgkmcnt(1)
	v_mul_f64 v[22:23], v[10:11], v[2:3]
	v_mul_f64 v[10:11], v[10:11], v[0:1]
	v_mov_b32_e32 v28, s5
	v_add_co_u32_e32 v20, vcc, s4, v20
	s_waitcnt lgkmcnt(0)
	v_mul_f64 v[26:27], v[14:15], v[18:19]
	v_mul_f64 v[14:15], v[14:15], v[16:17]
	v_addc_co_u32_e32 v21, vcc, v21, v28, vcc
	v_fma_f64 v[0:1], v[8:9], v[0:1], v[22:23]
	v_fma_f64 v[2:3], v[8:9], v[2:3], -v[10:11]
	v_mov_b32_e32 v8, v25
	global_store_dwordx4 v[20:21], v[4:7], off
	v_fma_f64 v[9:10], v[12:13], v[16:17], v[26:27]
	v_fma_f64 v[11:12], v[12:13], v[18:19], -v[14:15]
	v_mul_f64 v[0:1], v[0:1], s[2:3]
	v_mul_f64 v[2:3], v[2:3], s[2:3]
	v_mad_u64_u32 v[13:14], s[4:5], s1, v77, v[8:9]
	v_mul_f64 v[4:5], v[9:10], s[2:3]
	v_mul_f64 v[6:7], v[11:12], s[2:3]
	v_mov_b32_e32 v25, v13
	v_mad_u64_u32 v[8:9], s[2:3], s0, v79, v[20:21]
	v_lshlrev_b64 v[13:14], 4, v[24:25]
	s_mul_i32 s0, s1, 0x140
	v_add_co_u32_e32 v10, vcc, v50, v13
	v_addc_co_u32_e32 v11, vcc, v51, v14, vcc
	v_add_u32_e32 v9, s0, v9
	global_store_dwordx4 v[10:11], v[0:3], off
	global_store_dwordx4 v[8:9], v[4:7], off
.LBB0_2:
	s_endpgm
	.section	.rodata,"a",@progbits
	.p2align	6, 0x0
	.amdhsa_kernel bluestein_single_back_len100_dim1_dp_op_CI_CI
		.amdhsa_group_segment_fixed_size 9600
		.amdhsa_private_segment_fixed_size 0
		.amdhsa_kernarg_size 104
		.amdhsa_user_sgpr_count 6
		.amdhsa_user_sgpr_private_segment_buffer 1
		.amdhsa_user_sgpr_dispatch_ptr 0
		.amdhsa_user_sgpr_queue_ptr 0
		.amdhsa_user_sgpr_kernarg_segment_ptr 1
		.amdhsa_user_sgpr_dispatch_id 0
		.amdhsa_user_sgpr_flat_scratch_init 0
		.amdhsa_user_sgpr_private_segment_size 0
		.amdhsa_uses_dynamic_stack 0
		.amdhsa_system_sgpr_private_segment_wavefront_offset 0
		.amdhsa_system_sgpr_workgroup_id_x 1
		.amdhsa_system_sgpr_workgroup_id_y 0
		.amdhsa_system_sgpr_workgroup_id_z 0
		.amdhsa_system_sgpr_workgroup_info 0
		.amdhsa_system_vgpr_workitem_id 0
		.amdhsa_next_free_vgpr 175
		.amdhsa_next_free_sgpr 29
		.amdhsa_reserve_vcc 1
		.amdhsa_reserve_flat_scratch 0
		.amdhsa_float_round_mode_32 0
		.amdhsa_float_round_mode_16_64 0
		.amdhsa_float_denorm_mode_32 3
		.amdhsa_float_denorm_mode_16_64 3
		.amdhsa_dx10_clamp 1
		.amdhsa_ieee_mode 1
		.amdhsa_fp16_overflow 0
		.amdhsa_exception_fp_ieee_invalid_op 0
		.amdhsa_exception_fp_denorm_src 0
		.amdhsa_exception_fp_ieee_div_zero 0
		.amdhsa_exception_fp_ieee_overflow 0
		.amdhsa_exception_fp_ieee_underflow 0
		.amdhsa_exception_fp_ieee_inexact 0
		.amdhsa_exception_int_div_zero 0
	.end_amdhsa_kernel
	.text
.Lfunc_end0:
	.size	bluestein_single_back_len100_dim1_dp_op_CI_CI, .Lfunc_end0-bluestein_single_back_len100_dim1_dp_op_CI_CI
                                        ; -- End function
	.section	.AMDGPU.csdata,"",@progbits
; Kernel info:
; codeLenInByte = 8896
; NumSgprs: 33
; NumVgprs: 175
; ScratchSize: 0
; MemoryBound: 0
; FloatMode: 240
; IeeeMode: 1
; LDSByteSize: 9600 bytes/workgroup (compile time only)
; SGPRBlocks: 4
; VGPRBlocks: 43
; NumSGPRsForWavesPerEU: 33
; NumVGPRsForWavesPerEU: 175
; Occupancy: 1
; WaveLimiterHint : 1
; COMPUTE_PGM_RSRC2:SCRATCH_EN: 0
; COMPUTE_PGM_RSRC2:USER_SGPR: 6
; COMPUTE_PGM_RSRC2:TRAP_HANDLER: 0
; COMPUTE_PGM_RSRC2:TGID_X_EN: 1
; COMPUTE_PGM_RSRC2:TGID_Y_EN: 0
; COMPUTE_PGM_RSRC2:TGID_Z_EN: 0
; COMPUTE_PGM_RSRC2:TIDIG_COMP_CNT: 0
	.type	__hip_cuid_71ec8349ddc934bb,@object ; @__hip_cuid_71ec8349ddc934bb
	.section	.bss,"aw",@nobits
	.globl	__hip_cuid_71ec8349ddc934bb
__hip_cuid_71ec8349ddc934bb:
	.byte	0                               ; 0x0
	.size	__hip_cuid_71ec8349ddc934bb, 1

	.ident	"AMD clang version 19.0.0git (https://github.com/RadeonOpenCompute/llvm-project roc-6.4.0 25133 c7fe45cf4b819c5991fe208aaa96edf142730f1d)"
	.section	".note.GNU-stack","",@progbits
	.addrsig
	.addrsig_sym __hip_cuid_71ec8349ddc934bb
	.amdgpu_metadata
---
amdhsa.kernels:
  - .args:
      - .actual_access:  read_only
        .address_space:  global
        .offset:         0
        .size:           8
        .value_kind:     global_buffer
      - .actual_access:  read_only
        .address_space:  global
        .offset:         8
        .size:           8
        .value_kind:     global_buffer
      - .actual_access:  read_only
        .address_space:  global
        .offset:         16
        .size:           8
        .value_kind:     global_buffer
      - .actual_access:  read_only
        .address_space:  global
        .offset:         24
        .size:           8
        .value_kind:     global_buffer
      - .actual_access:  read_only
        .address_space:  global
        .offset:         32
        .size:           8
        .value_kind:     global_buffer
      - .offset:         40
        .size:           8
        .value_kind:     by_value
      - .address_space:  global
        .offset:         48
        .size:           8
        .value_kind:     global_buffer
      - .address_space:  global
        .offset:         56
        .size:           8
        .value_kind:     global_buffer
      - .address_space:  global
        .offset:         64
        .size:           8
        .value_kind:     global_buffer
      - .address_space:  global
        .offset:         72
        .size:           8
        .value_kind:     global_buffer
      - .offset:         80
        .size:           4
        .value_kind:     by_value
      - .address_space:  global
        .offset:         88
        .size:           8
        .value_kind:     global_buffer
      - .address_space:  global
        .offset:         96
        .size:           8
        .value_kind:     global_buffer
    .group_segment_fixed_size: 9600
    .kernarg_segment_align: 8
    .kernarg_segment_size: 104
    .language:       OpenCL C
    .language_version:
      - 2
      - 0
    .max_flat_workgroup_size: 60
    .name:           bluestein_single_back_len100_dim1_dp_op_CI_CI
    .private_segment_fixed_size: 0
    .sgpr_count:     33
    .sgpr_spill_count: 0
    .symbol:         bluestein_single_back_len100_dim1_dp_op_CI_CI.kd
    .uniform_work_group_size: 1
    .uses_dynamic_stack: false
    .vgpr_count:     175
    .vgpr_spill_count: 0
    .wavefront_size: 64
amdhsa.target:   amdgcn-amd-amdhsa--gfx906
amdhsa.version:
  - 1
  - 2
...

	.end_amdgpu_metadata
